;; amdgpu-corpus repo=ROCm/rocFFT kind=compiled arch=gfx1100 opt=O3
	.text
	.amdgcn_target "amdgcn-amd-amdhsa--gfx1100"
	.amdhsa_code_object_version 6
	.protected	fft_rtc_back_len312_factors_13_4_3_2_wgs_52_tpt_26_dp_ip_CI_unitstride_sbrr_R2C_dirReg ; -- Begin function fft_rtc_back_len312_factors_13_4_3_2_wgs_52_tpt_26_dp_ip_CI_unitstride_sbrr_R2C_dirReg
	.globl	fft_rtc_back_len312_factors_13_4_3_2_wgs_52_tpt_26_dp_ip_CI_unitstride_sbrr_R2C_dirReg
	.p2align	8
	.type	fft_rtc_back_len312_factors_13_4_3_2_wgs_52_tpt_26_dp_ip_CI_unitstride_sbrr_R2C_dirReg,@function
fft_rtc_back_len312_factors_13_4_3_2_wgs_52_tpt_26_dp_ip_CI_unitstride_sbrr_R2C_dirReg: ; @fft_rtc_back_len312_factors_13_4_3_2_wgs_52_tpt_26_dp_ip_CI_unitstride_sbrr_R2C_dirReg
; %bb.0:
	s_clause 0x2
	s_load_b128 s[4:7], s[0:1], 0x0
	s_load_b64 s[8:9], s[0:1], 0x50
	s_load_b64 s[10:11], s[0:1], 0x18
	v_mul_u32_u24_e32 v1, 0x9d9, v0
	v_mov_b32_e32 v3, 0
	v_mov_b32_e32 v4, 0
	s_delay_alu instid0(VALU_DEP_3) | instskip(SKIP_1) | instid1(VALU_DEP_2)
	v_lshrrev_b32_e32 v9, 16, v1
	v_mov_b32_e32 v1, 0
	v_lshl_add_u32 v5, s15, 1, v9
	s_delay_alu instid0(VALU_DEP_2) | instskip(SKIP_2) | instid1(VALU_DEP_1)
	v_mov_b32_e32 v6, v1
	s_waitcnt lgkmcnt(0)
	v_cmp_lt_u64_e64 s2, s[6:7], 2
	s_and_b32 vcc_lo, exec_lo, s2
	s_cbranch_vccnz .LBB0_8
; %bb.1:
	s_load_b64 s[2:3], s[0:1], 0x10
	v_mov_b32_e32 v3, 0
	s_add_u32 s12, s10, 8
	v_mov_b32_e32 v4, 0
	s_addc_u32 s13, s11, 0
	s_mov_b64 s[16:17], 1
	s_waitcnt lgkmcnt(0)
	s_add_u32 s14, s2, 8
	s_addc_u32 s15, s3, 0
.LBB0_2:                                ; =>This Inner Loop Header: Depth=1
	s_load_b64 s[18:19], s[14:15], 0x0
                                        ; implicit-def: $vgpr7_vgpr8
	s_mov_b32 s2, exec_lo
	s_waitcnt lgkmcnt(0)
	v_or_b32_e32 v2, s19, v6
	s_delay_alu instid0(VALU_DEP_1)
	v_cmpx_ne_u64_e32 0, v[1:2]
	s_xor_b32 s3, exec_lo, s2
	s_cbranch_execz .LBB0_4
; %bb.3:                                ;   in Loop: Header=BB0_2 Depth=1
	v_cvt_f32_u32_e32 v2, s18
	v_cvt_f32_u32_e32 v7, s19
	s_sub_u32 s2, 0, s18
	s_subb_u32 s20, 0, s19
	s_delay_alu instid0(VALU_DEP_1) | instskip(NEXT) | instid1(VALU_DEP_1)
	v_fmac_f32_e32 v2, 0x4f800000, v7
	v_rcp_f32_e32 v2, v2
	s_waitcnt_depctr 0xfff
	v_mul_f32_e32 v2, 0x5f7ffffc, v2
	s_delay_alu instid0(VALU_DEP_1) | instskip(NEXT) | instid1(VALU_DEP_1)
	v_mul_f32_e32 v7, 0x2f800000, v2
	v_trunc_f32_e32 v7, v7
	s_delay_alu instid0(VALU_DEP_1) | instskip(SKIP_1) | instid1(VALU_DEP_2)
	v_fmac_f32_e32 v2, 0xcf800000, v7
	v_cvt_u32_f32_e32 v7, v7
	v_cvt_u32_f32_e32 v2, v2
	s_delay_alu instid0(VALU_DEP_2) | instskip(NEXT) | instid1(VALU_DEP_2)
	v_mul_lo_u32 v8, s2, v7
	v_mul_hi_u32 v10, s2, v2
	v_mul_lo_u32 v11, s20, v2
	s_delay_alu instid0(VALU_DEP_2) | instskip(SKIP_1) | instid1(VALU_DEP_2)
	v_add_nc_u32_e32 v8, v10, v8
	v_mul_lo_u32 v10, s2, v2
	v_add_nc_u32_e32 v8, v8, v11
	s_delay_alu instid0(VALU_DEP_2) | instskip(NEXT) | instid1(VALU_DEP_2)
	v_mul_hi_u32 v11, v2, v10
	v_mul_lo_u32 v12, v2, v8
	v_mul_hi_u32 v13, v2, v8
	v_mul_hi_u32 v14, v7, v10
	v_mul_lo_u32 v10, v7, v10
	v_mul_hi_u32 v15, v7, v8
	v_mul_lo_u32 v8, v7, v8
	v_add_co_u32 v11, vcc_lo, v11, v12
	v_add_co_ci_u32_e32 v12, vcc_lo, 0, v13, vcc_lo
	s_delay_alu instid0(VALU_DEP_2) | instskip(NEXT) | instid1(VALU_DEP_2)
	v_add_co_u32 v10, vcc_lo, v11, v10
	v_add_co_ci_u32_e32 v10, vcc_lo, v12, v14, vcc_lo
	v_add_co_ci_u32_e32 v11, vcc_lo, 0, v15, vcc_lo
	s_delay_alu instid0(VALU_DEP_2) | instskip(NEXT) | instid1(VALU_DEP_2)
	v_add_co_u32 v8, vcc_lo, v10, v8
	v_add_co_ci_u32_e32 v10, vcc_lo, 0, v11, vcc_lo
	s_delay_alu instid0(VALU_DEP_2) | instskip(NEXT) | instid1(VALU_DEP_2)
	v_add_co_u32 v2, vcc_lo, v2, v8
	v_add_co_ci_u32_e32 v7, vcc_lo, v7, v10, vcc_lo
	s_delay_alu instid0(VALU_DEP_2) | instskip(SKIP_1) | instid1(VALU_DEP_3)
	v_mul_hi_u32 v8, s2, v2
	v_mul_lo_u32 v11, s20, v2
	v_mul_lo_u32 v10, s2, v7
	s_delay_alu instid0(VALU_DEP_1) | instskip(SKIP_1) | instid1(VALU_DEP_2)
	v_add_nc_u32_e32 v8, v8, v10
	v_mul_lo_u32 v10, s2, v2
	v_add_nc_u32_e32 v8, v8, v11
	s_delay_alu instid0(VALU_DEP_2) | instskip(NEXT) | instid1(VALU_DEP_2)
	v_mul_hi_u32 v11, v2, v10
	v_mul_lo_u32 v12, v2, v8
	v_mul_hi_u32 v13, v2, v8
	v_mul_hi_u32 v14, v7, v10
	v_mul_lo_u32 v10, v7, v10
	v_mul_hi_u32 v15, v7, v8
	v_mul_lo_u32 v8, v7, v8
	v_add_co_u32 v11, vcc_lo, v11, v12
	v_add_co_ci_u32_e32 v12, vcc_lo, 0, v13, vcc_lo
	s_delay_alu instid0(VALU_DEP_2) | instskip(NEXT) | instid1(VALU_DEP_2)
	v_add_co_u32 v10, vcc_lo, v11, v10
	v_add_co_ci_u32_e32 v10, vcc_lo, v12, v14, vcc_lo
	v_add_co_ci_u32_e32 v11, vcc_lo, 0, v15, vcc_lo
	s_delay_alu instid0(VALU_DEP_2) | instskip(NEXT) | instid1(VALU_DEP_2)
	v_add_co_u32 v8, vcc_lo, v10, v8
	v_add_co_ci_u32_e32 v10, vcc_lo, 0, v11, vcc_lo
	s_delay_alu instid0(VALU_DEP_2) | instskip(NEXT) | instid1(VALU_DEP_2)
	v_add_co_u32 v2, vcc_lo, v2, v8
	v_add_co_ci_u32_e32 v14, vcc_lo, v7, v10, vcc_lo
	s_delay_alu instid0(VALU_DEP_2) | instskip(SKIP_1) | instid1(VALU_DEP_3)
	v_mul_hi_u32 v15, v5, v2
	v_mad_u64_u32 v[10:11], null, v6, v2, 0
	v_mad_u64_u32 v[7:8], null, v5, v14, 0
	;; [unrolled: 1-line block ×3, first 2 shown]
	s_delay_alu instid0(VALU_DEP_2) | instskip(NEXT) | instid1(VALU_DEP_3)
	v_add_co_u32 v2, vcc_lo, v15, v7
	v_add_co_ci_u32_e32 v7, vcc_lo, 0, v8, vcc_lo
	s_delay_alu instid0(VALU_DEP_2) | instskip(NEXT) | instid1(VALU_DEP_2)
	v_add_co_u32 v2, vcc_lo, v2, v10
	v_add_co_ci_u32_e32 v2, vcc_lo, v7, v11, vcc_lo
	v_add_co_ci_u32_e32 v7, vcc_lo, 0, v13, vcc_lo
	s_delay_alu instid0(VALU_DEP_2) | instskip(NEXT) | instid1(VALU_DEP_2)
	v_add_co_u32 v2, vcc_lo, v2, v12
	v_add_co_ci_u32_e32 v10, vcc_lo, 0, v7, vcc_lo
	s_delay_alu instid0(VALU_DEP_2) | instskip(SKIP_1) | instid1(VALU_DEP_3)
	v_mul_lo_u32 v11, s19, v2
	v_mad_u64_u32 v[7:8], null, s18, v2, 0
	v_mul_lo_u32 v12, s18, v10
	s_delay_alu instid0(VALU_DEP_2) | instskip(NEXT) | instid1(VALU_DEP_2)
	v_sub_co_u32 v7, vcc_lo, v5, v7
	v_add3_u32 v8, v8, v12, v11
	s_delay_alu instid0(VALU_DEP_1) | instskip(NEXT) | instid1(VALU_DEP_1)
	v_sub_nc_u32_e32 v11, v6, v8
	v_subrev_co_ci_u32_e64 v11, s2, s19, v11, vcc_lo
	v_add_co_u32 v12, s2, v2, 2
	s_delay_alu instid0(VALU_DEP_1) | instskip(SKIP_3) | instid1(VALU_DEP_3)
	v_add_co_ci_u32_e64 v13, s2, 0, v10, s2
	v_sub_co_u32 v14, s2, v7, s18
	v_sub_co_ci_u32_e32 v8, vcc_lo, v6, v8, vcc_lo
	v_subrev_co_ci_u32_e64 v11, s2, 0, v11, s2
	v_cmp_le_u32_e32 vcc_lo, s18, v14
	s_delay_alu instid0(VALU_DEP_3) | instskip(SKIP_1) | instid1(VALU_DEP_4)
	v_cmp_eq_u32_e64 s2, s19, v8
	v_cndmask_b32_e64 v14, 0, -1, vcc_lo
	v_cmp_le_u32_e32 vcc_lo, s19, v11
	v_cndmask_b32_e64 v15, 0, -1, vcc_lo
	v_cmp_le_u32_e32 vcc_lo, s18, v7
	;; [unrolled: 2-line block ×3, first 2 shown]
	v_cndmask_b32_e64 v16, 0, -1, vcc_lo
	v_cmp_eq_u32_e32 vcc_lo, s19, v11
	s_delay_alu instid0(VALU_DEP_2) | instskip(SKIP_3) | instid1(VALU_DEP_3)
	v_cndmask_b32_e64 v7, v16, v7, s2
	v_cndmask_b32_e32 v11, v15, v14, vcc_lo
	v_add_co_u32 v14, vcc_lo, v2, 1
	v_add_co_ci_u32_e32 v15, vcc_lo, 0, v10, vcc_lo
	v_cmp_ne_u32_e32 vcc_lo, 0, v11
	s_delay_alu instid0(VALU_DEP_2) | instskip(SKIP_1) | instid1(VALU_DEP_2)
	v_dual_cndmask_b32 v8, v15, v13 :: v_dual_cndmask_b32 v11, v14, v12
	v_cmp_ne_u32_e32 vcc_lo, 0, v7
	v_cndmask_b32_e32 v7, v2, v11, vcc_lo
	s_delay_alu instid0(VALU_DEP_3)
	v_cndmask_b32_e32 v8, v10, v8, vcc_lo
.LBB0_4:                                ;   in Loop: Header=BB0_2 Depth=1
	s_and_not1_saveexec_b32 s2, s3
	s_cbranch_execz .LBB0_6
; %bb.5:                                ;   in Loop: Header=BB0_2 Depth=1
	v_cvt_f32_u32_e32 v2, s18
	s_sub_i32 s3, 0, s18
	s_delay_alu instid0(VALU_DEP_1) | instskip(SKIP_2) | instid1(VALU_DEP_1)
	v_rcp_iflag_f32_e32 v2, v2
	s_waitcnt_depctr 0xfff
	v_mul_f32_e32 v2, 0x4f7ffffe, v2
	v_cvt_u32_f32_e32 v2, v2
	s_delay_alu instid0(VALU_DEP_1) | instskip(NEXT) | instid1(VALU_DEP_1)
	v_mul_lo_u32 v7, s3, v2
	v_mul_hi_u32 v7, v2, v7
	s_delay_alu instid0(VALU_DEP_1) | instskip(NEXT) | instid1(VALU_DEP_1)
	v_add_nc_u32_e32 v2, v2, v7
	v_mul_hi_u32 v2, v5, v2
	s_delay_alu instid0(VALU_DEP_1) | instskip(SKIP_1) | instid1(VALU_DEP_2)
	v_mul_lo_u32 v7, v2, s18
	v_add_nc_u32_e32 v8, 1, v2
	v_sub_nc_u32_e32 v7, v5, v7
	s_delay_alu instid0(VALU_DEP_1) | instskip(SKIP_1) | instid1(VALU_DEP_2)
	v_subrev_nc_u32_e32 v10, s18, v7
	v_cmp_le_u32_e32 vcc_lo, s18, v7
	v_dual_cndmask_b32 v7, v7, v10 :: v_dual_cndmask_b32 v2, v2, v8
	s_delay_alu instid0(VALU_DEP_1) | instskip(NEXT) | instid1(VALU_DEP_2)
	v_cmp_le_u32_e32 vcc_lo, s18, v7
	v_add_nc_u32_e32 v8, 1, v2
	s_delay_alu instid0(VALU_DEP_1)
	v_dual_cndmask_b32 v7, v2, v8 :: v_dual_mov_b32 v8, v1
.LBB0_6:                                ;   in Loop: Header=BB0_2 Depth=1
	s_or_b32 exec_lo, exec_lo, s2
	s_load_b64 s[2:3], s[12:13], 0x0
	s_delay_alu instid0(VALU_DEP_1) | instskip(NEXT) | instid1(VALU_DEP_2)
	v_mul_lo_u32 v2, v8, s18
	v_mul_lo_u32 v12, v7, s19
	v_mad_u64_u32 v[10:11], null, v7, s18, 0
	s_add_u32 s16, s16, 1
	s_addc_u32 s17, s17, 0
	s_add_u32 s12, s12, 8
	s_addc_u32 s13, s13, 0
	;; [unrolled: 2-line block ×3, first 2 shown]
	s_delay_alu instid0(VALU_DEP_1) | instskip(SKIP_1) | instid1(VALU_DEP_2)
	v_add3_u32 v2, v11, v12, v2
	v_sub_co_u32 v10, vcc_lo, v5, v10
	v_sub_co_ci_u32_e32 v2, vcc_lo, v6, v2, vcc_lo
	s_waitcnt lgkmcnt(0)
	s_delay_alu instid0(VALU_DEP_2) | instskip(NEXT) | instid1(VALU_DEP_2)
	v_mul_lo_u32 v11, s3, v10
	v_mul_lo_u32 v2, s2, v2
	v_mad_u64_u32 v[5:6], null, s2, v10, v[3:4]
	v_cmp_ge_u64_e64 s2, s[16:17], s[6:7]
	s_delay_alu instid0(VALU_DEP_1) | instskip(NEXT) | instid1(VALU_DEP_2)
	s_and_b32 vcc_lo, exec_lo, s2
	v_add3_u32 v4, v11, v6, v2
	s_delay_alu instid0(VALU_DEP_3)
	v_mov_b32_e32 v3, v5
	s_cbranch_vccnz .LBB0_9
; %bb.7:                                ;   in Loop: Header=BB0_2 Depth=1
	v_dual_mov_b32 v5, v7 :: v_dual_mov_b32 v6, v8
	s_branch .LBB0_2
.LBB0_8:
	v_dual_mov_b32 v8, v6 :: v_dual_mov_b32 v7, v5
.LBB0_9:
	s_lshl_b64 s[2:3], s[6:7], 3
	v_mul_hi_u32 v5, 0x9d89d8a, v0
	s_add_u32 s2, s10, s2
	s_addc_u32 s3, s11, s3
	s_load_b64 s[2:3], s[2:3], 0x0
	s_load_b64 s[0:1], s[0:1], 0x20
	s_waitcnt lgkmcnt(0)
	v_mad_u64_u32 v[1:2], null, s2, v7, v[3:4]
	v_and_b32_e32 v3, 1, v9
	v_mul_lo_u32 v6, s2, v8
	v_mul_lo_u32 v10, s3, v7
	v_mul_u32_u24_e32 v4, 26, v5
	s_delay_alu instid0(VALU_DEP_4) | instskip(NEXT) | instid1(VALU_DEP_2)
	v_cmp_eq_u32_e32 vcc_lo, 1, v3
	v_sub_nc_u32_e32 v52, v0, v4
	s_delay_alu instid0(VALU_DEP_4) | instskip(SKIP_2) | instid1(VALU_DEP_4)
	v_add3_u32 v2, v10, v2, v6
	v_cndmask_b32_e64 v3, 0, 0x139, vcc_lo
	v_cmp_gt_u64_e32 vcc_lo, s[0:1], v[7:8]
	v_lshlrev_b32_e32 v79, 4, v52
	s_delay_alu instid0(VALU_DEP_4) | instskip(NEXT) | instid1(VALU_DEP_4)
	v_lshlrev_b64 v[54:55], 4, v[1:2]
	v_lshlrev_b32_e32 v82, 4, v3
	s_and_saveexec_b32 s1, vcc_lo
	s_cbranch_execz .LBB0_11
; %bb.10:
	v_mov_b32_e32 v53, 0
	s_delay_alu instid0(VALU_DEP_3) | instskip(NEXT) | instid1(VALU_DEP_1)
	v_add_co_u32 v2, s0, s8, v54
	v_add_co_ci_u32_e64 v3, s0, s9, v55, s0
	s_delay_alu instid0(VALU_DEP_3) | instskip(SKIP_1) | instid1(VALU_DEP_2)
	v_lshlrev_b64 v[0:1], 4, v[52:53]
	v_add3_u32 v48, 0, v82, v79
	v_add_co_u32 v36, s0, v2, v0
	s_delay_alu instid0(VALU_DEP_1)
	v_add_co_ci_u32_e64 v37, s0, v3, v1, s0
	s_clause 0x5
	global_load_b128 v[0:3], v[36:37], off
	global_load_b128 v[4:7], v[36:37], off offset:416
	global_load_b128 v[8:11], v[36:37], off offset:832
	;; [unrolled: 1-line block ×5, first 2 shown]
	v_add_co_u32 v44, s0, 0x1000, v36
	s_delay_alu instid0(VALU_DEP_1)
	v_add_co_ci_u32_e64 v45, s0, 0, v37, s0
	s_clause 0x5
	global_load_b128 v[24:27], v[36:37], off offset:2496
	global_load_b128 v[28:31], v[36:37], off offset:2912
	;; [unrolled: 1-line block ×6, first 2 shown]
	s_waitcnt vmcnt(11)
	ds_store_b128 v48, v[0:3]
	s_waitcnt vmcnt(10)
	ds_store_b128 v48, v[4:7] offset:416
	s_waitcnt vmcnt(9)
	ds_store_b128 v48, v[8:11] offset:832
	;; [unrolled: 2-line block ×11, first 2 shown]
.LBB0_11:
	s_or_b32 exec_lo, exec_lo, s1
	s_delay_alu instid0(VALU_DEP_1)
	v_add_nc_u32_e32 v80, 0, v82
	v_add_nc_u32_e32 v53, 0, v79
	s_waitcnt lgkmcnt(0)
	s_barrier
	buffer_gl0_inv
	v_add_nc_u32_e32 v78, v80, v79
	v_add_nc_u32_e32 v81, v53, v82
	s_mov_b32 s33, exec_lo
	ds_load_b128 v[16:19], v78
	ds_load_b128 v[48:51], v81 offset:384
	ds_load_b128 v[36:39], v81 offset:768
	;; [unrolled: 1-line block ×12, first 2 shown]
	s_waitcnt lgkmcnt(0)
	s_barrier
	buffer_gl0_inv
	v_cmpx_gt_u32_e32 24, v52
	s_cbranch_execz .LBB0_13
; %bb.12:
	v_add_f64 v[56:57], v[18:19], v[50:51]
	v_add_f64 v[58:59], v[16:17], v[48:49]
	v_add_f64 v[83:84], v[36:37], -v[4:5]
	v_add_f64 v[85:86], v[38:39], -v[6:7]
	;; [unrolled: 1-line block ×10, first 2 shown]
	s_mov_b32 s31, 0x3fddbe06
	s_mov_b32 s30, 0x4267c47c
	;; [unrolled: 1-line block ×16, first 2 shown]
	v_add_f64 v[74:75], v[50:51], v[2:3]
	v_add_f64 v[76:77], v[48:49], v[0:1]
	v_add_f64 v[50:51], v[30:31], v[26:27]
	v_add_f64 v[48:49], v[28:29], v[24:25]
	s_mov_b32 s20, 0xebaa3ed8
	s_mov_b32 s18, 0xb2365da1
	;; [unrolled: 1-line block ×6, first 2 shown]
	v_add_f64 v[56:57], v[56:57], v[38:39]
	v_add_f64 v[58:59], v[58:59], v[36:37]
	v_mul_f64 v[97:98], v[83:84], s[30:31]
	v_mul_f64 v[99:100], v[85:86], s[30:31]
	;; [unrolled: 1-line block ×6, first 2 shown]
	s_mov_b32 s21, 0x3fbedb7d
	v_mul_f64 v[119:120], v[70:71], s[30:31]
	v_mul_f64 v[101:102], v[89:90], s[0:1]
	;; [unrolled: 1-line block ×10, first 2 shown]
	s_mov_b32 s19, 0xbfd6b1d8
	s_mov_b32 s13, 0x3fe22d96
	;; [unrolled: 1-line block ×9, first 2 shown]
	v_add_f64 v[38:39], v[38:39], v[6:7]
	v_add_f64 v[36:37], v[36:37], v[4:5]
	v_mul_f64 v[133:134], v[83:84], s[24:25]
	v_mul_f64 v[135:136], v[83:84], s[34:35]
	v_mul_f64 v[137:138], v[83:84], s[0:1]
	v_mul_f64 v[139:140], v[83:84], s[22:23]
	v_mul_f64 v[83:84], v[83:84], s[26:27]
	v_mul_f64 v[141:142], v[85:86], s[24:25]
	v_mul_f64 v[143:144], v[85:86], s[34:35]
	v_mul_f64 v[145:146], v[85:86], s[0:1]
	v_add_f64 v[64:65], v[56:57], v[42:43]
	v_add_f64 v[66:67], v[58:59], v[40:41]
	v_add_f64 v[58:59], v[28:29], -v[24:25]
	v_add_f64 v[56:57], v[30:31], -v[26:27]
	v_add_f64 v[42:43], v[42:43], v[10:11]
	v_mul_f64 v[147:148], v[85:86], s[22:23]
	v_mul_f64 v[85:86], v[85:86], s[26:27]
	;; [unrolled: 1-line block ×7, first 2 shown]
	v_fma_f64 v[157:158], v[74:75], s[10:11], v[101:102]
	v_fma_f64 v[101:102], v[74:75], s[10:11], -v[101:102]
	v_fma_f64 v[159:160], v[74:75], s[14:15], v[105:106]
	v_fma_f64 v[105:106], v[74:75], s[14:15], -v[105:106]
	;; [unrolled: 2-line block ×4, first 2 shown]
	v_fma_f64 v[165:166], v[76:77], s[14:15], -v[121:122]
	v_fma_f64 v[121:122], v[76:77], s[14:15], v[121:122]
	v_fma_f64 v[167:168], v[76:77], s[18:19], -v[125:126]
	v_fma_f64 v[125:126], v[76:77], s[18:19], v[125:126]
	v_fma_f64 v[169:170], v[76:77], s[20:21], -v[129:130]
	v_fma_f64 v[129:130], v[76:77], s[20:21], v[129:130]
	v_fma_f64 v[171:172], v[76:77], s[12:13], -v[131:132]
	v_fma_f64 v[131:132], v[76:77], s[12:13], v[131:132]
	v_add_f64 v[40:41], v[40:41], v[8:9]
	v_fma_f64 v[173:174], v[38:39], s[16:17], v[97:98]
	v_fma_f64 v[97:98], v[38:39], s[16:17], -v[97:98]
	v_fma_f64 v[175:176], v[38:39], s[20:21], v[133:134]
	v_fma_f64 v[133:134], v[38:39], s[20:21], -v[133:134]
	;; [unrolled: 2-line block ×4, first 2 shown]
	v_fma_f64 v[181:182], v[38:39], s[18:19], v[139:140]
	v_add_f64 v[93:94], v[64:65], v[46:47]
	v_add_f64 v[95:96], v[66:67], v[44:45]
	;; [unrolled: 1-line block ×4, first 2 shown]
	v_mul_f64 v[123:124], v[58:59], s[30:31]
	v_mul_f64 v[127:128], v[56:57], s[30:31]
	v_fma_f64 v[139:140], v[38:39], s[18:19], -v[139:140]
	v_fma_f64 v[183:184], v[38:39], s[12:13], v[83:84]
	v_fma_f64 v[38:39], v[38:39], s[12:13], -v[83:84]
	v_fma_f64 v[83:84], v[36:37], s[16:17], -v[99:100]
	v_fma_f64 v[99:100], v[36:37], s[16:17], v[99:100]
	v_fma_f64 v[185:186], v[36:37], s[20:21], -v[141:142]
	v_fma_f64 v[141:142], v[36:37], s[20:21], v[141:142]
	v_fma_f64 v[191:192], v[42:43], s[12:13], v[151:152]
	v_fma_f64 v[151:152], v[42:43], s[12:13], -v[151:152]
	v_add_f64 v[157:158], v[18:19], v[157:158]
	v_add_f64 v[101:102], v[18:19], v[101:102]
	;; [unrolled: 1-line block ×16, first 2 shown]
	v_mul_f64 v[193:194], v[72:73], s[26:27]
	v_mul_f64 v[195:196], v[72:73], s[36:37]
	;; [unrolled: 1-line block ×3, first 2 shown]
	v_add_f64 v[46:47], v[46:47], v[14:15]
	v_add_f64 v[44:45], v[44:45], v[12:13]
	v_fma_f64 v[203:204], v[40:41], s[16:17], -v[115:116]
	v_fma_f64 v[115:116], v[40:41], s[16:17], v[115:116]
	v_add_f64 v[34:35], v[93:94], v[34:35]
	v_add_f64 v[32:33], v[95:96], v[32:33]
	v_mul_f64 v[95:96], v[68:69], s[30:31]
	s_mov_b32 s31, 0xbfddbe06
	v_mul_f64 v[93:94], v[89:90], s[26:27]
	v_mul_f64 v[89:90], v[89:90], s[30:31]
	;; [unrolled: 1-line block ×3, first 2 shown]
	s_mov_b32 s31, 0x3fcea1e5
	s_mov_b32 s30, s0
	v_add_f64 v[105:106], v[133:134], v[105:106]
	v_mul_f64 v[133:134], v[68:69], s[6:7]
	v_add_f64 v[109:110], v[135:136], v[109:110]
	v_mul_f64 v[135:136], v[68:69], s[30:31]
	;; [unrolled: 2-line block ×3, first 2 shown]
	v_fma_f64 v[201:202], v[40:41], s[12:13], -v[193:194]
	v_fma_f64 v[193:194], v[40:41], s[12:13], v[193:194]
	v_fma_f64 v[205:206], v[40:41], s[18:19], -v[195:196]
	v_fma_f64 v[195:196], v[40:41], s[18:19], v[195:196]
	;; [unrolled: 2-line block ×3, first 2 shown]
	v_add_f64 v[30:31], v[34:35], v[30:31]
	v_add_f64 v[28:29], v[32:33], v[28:29]
	v_fma_f64 v[32:33], v[74:75], s[12:13], v[93:94]
	v_fma_f64 v[34:35], v[74:75], s[12:13], -v[93:94]
	v_fma_f64 v[93:94], v[76:77], s[10:11], -v[117:118]
	v_fma_f64 v[117:118], v[76:77], s[10:11], v[117:118]
	v_fma_f64 v[187:188], v[74:75], s[16:17], v[89:90]
	v_fma_f64 v[189:190], v[76:77], s[16:17], -v[91:92]
	v_fma_f64 v[74:75], v[74:75], s[16:17], -v[89:90]
	v_fma_f64 v[76:77], v[76:77], s[16:17], v[91:92]
	v_fma_f64 v[89:90], v[36:37], s[14:15], -v[143:144]
	v_fma_f64 v[91:92], v[36:37], s[14:15], v[143:144]
	;; [unrolled: 2-line block ×3, first 2 shown]
	v_add_f64 v[105:106], v[151:152], v[105:106]
	v_fma_f64 v[151:152], v[46:47], s[16:17], v[95:96]
	v_fma_f64 v[95:96], v[46:47], s[16:17], -v[95:96]
	v_add_f64 v[26:27], v[30:31], v[26:27]
	v_add_f64 v[24:25], v[28:29], v[24:25]
	v_fma_f64 v[28:29], v[36:37], s[18:19], -v[147:148]
	v_fma_f64 v[30:31], v[36:37], s[18:19], v[147:148]
	v_fma_f64 v[147:148], v[36:37], s[12:13], -v[85:86]
	v_fma_f64 v[36:37], v[36:37], s[12:13], v[85:86]
	v_fma_f64 v[85:86], v[42:43], s[14:15], v[149:150]
	v_fma_f64 v[149:150], v[42:43], s[14:15], -v[149:150]
	v_add_f64 v[93:94], v[16:17], v[93:94]
	v_add_f64 v[117:118], v[16:17], v[117:118]
	v_add_f64 v[32:33], v[18:19], v[32:33]
	v_add_f64 v[34:35], v[18:19], v[34:35]
	v_add_f64 v[187:188], v[18:19], v[187:188]
	v_add_f64 v[189:190], v[16:17], v[189:190]
	v_add_f64 v[18:19], v[18:19], v[74:75]
	v_add_f64 v[16:17], v[16:17], v[76:77]
	v_fma_f64 v[74:75], v[42:43], s[16:17], v[111:112]
	v_fma_f64 v[76:77], v[42:43], s[16:17], -v[111:112]
	v_fma_f64 v[111:112], v[42:43], s[18:19], v[153:154]
	v_fma_f64 v[153:154], v[42:43], s[18:19], -v[153:154]
	v_add_f64 v[91:92], v[91:92], v[125:126]
	v_mul_f64 v[125:126], v[70:71], s[30:31]
	v_add_f64 v[89:90], v[89:90], v[167:168]
	v_add_f64 v[143:144], v[143:144], v[169:170]
	;; [unrolled: 1-line block ×3, first 2 shown]
	v_mul_f64 v[169:170], v[62:63], s[26:27]
	v_mul_f64 v[145:146], v[60:61], s[22:23]
	v_add_f64 v[22:23], v[26:27], v[22:23]
	v_add_f64 v[20:21], v[24:25], v[20:21]
	v_fma_f64 v[24:25], v[42:43], s[10:11], v[155:156]
	v_fma_f64 v[26:27], v[42:43], s[10:11], -v[155:156]
	v_fma_f64 v[155:156], v[42:43], s[20:21], v[87:88]
	v_fma_f64 v[42:43], v[42:43], s[20:21], -v[87:88]
	v_mul_f64 v[87:88], v[72:73], s[2:3]
	v_mul_f64 v[72:73], v[72:73], s[28:29]
	v_add_f64 v[83:84], v[83:84], v[93:94]
	v_add_f64 v[93:94], v[97:98], v[101:102]
	;; [unrolled: 1-line block ×5, first 2 shown]
	v_mul_f64 v[141:142], v[70:71], s[6:7]
	v_add_f64 v[101:102], v[185:186], v[165:166]
	v_add_f64 v[121:122], v[177:178], v[161:162]
	v_mul_f64 v[159:160], v[68:69], s[28:29]
	v_mul_f64 v[161:162], v[70:71], s[28:29]
	v_add_f64 v[32:33], v[181:182], v[32:33]
	v_add_f64 v[28:29], v[28:29], v[171:172]
	v_mul_f64 v[165:166], v[70:71], s[34:35]
	v_add_f64 v[34:35], v[139:140], v[34:35]
	v_add_f64 v[30:31], v[30:31], v[131:132]
	;; [unrolled: 1-line block ×4, first 2 shown]
	v_fma_f64 v[175:176], v[44:45], s[10:11], -v[125:126]
	v_mul_f64 v[70:71], v[70:71], s[22:23]
	v_add_f64 v[16:17], v[36:37], v[16:17]
	v_add_f64 v[147:148], v[147:148], v[189:190]
	v_mul_f64 v[139:140], v[62:63], s[30:31]
	v_mul_f64 v[131:132], v[60:61], s[30:31]
	;; [unrolled: 1-line block ×4, first 2 shown]
	v_fma_f64 v[125:126], v[44:45], s[10:11], v[125:126]
	v_add_f64 v[89:90], v[203:204], v[89:90]
	v_add_f64 v[76:77], v[76:77], v[109:110]
	v_fma_f64 v[109:110], v[66:67], s[16:17], v[103:104]
	v_add_f64 v[91:92], v[115:116], v[91:92]
	v_add_f64 v[143:144], v[205:206], v[143:144]
	;; [unrolled: 1-line block ×6, first 2 shown]
	v_fma_f64 v[181:182], v[64:65], s[18:19], -v[145:146]
	v_fma_f64 v[199:200], v[40:41], s[14:15], -v[87:88]
	v_fma_f64 v[87:88], v[40:41], s[14:15], v[87:88]
	v_fma_f64 v[209:210], v[40:41], s[20:21], -v[72:73]
	v_fma_f64 v[40:41], v[40:41], s[20:21], v[72:73]
	v_add_f64 v[72:73], v[173:174], v[157:158]
	v_add_f64 v[157:158], v[179:180], v[163:164]
	v_mul_f64 v[163:164], v[68:69], s[34:35]
	v_mul_f64 v[68:69], v[68:69], s[22:23]
	v_fma_f64 v[173:174], v[46:47], s[12:13], v[133:134]
	v_add_f64 v[93:94], v[149:150], v[93:94]
	v_fma_f64 v[149:150], v[44:45], s[12:13], -v[141:142]
	v_fma_f64 v[133:134], v[46:47], s[12:13], -v[133:134]
	v_add_f64 v[99:100], v[191:192], v[99:100]
	v_add_f64 v[101:102], v[201:202], v[101:102]
	v_fma_f64 v[36:37], v[46:47], s[20:21], v[159:160]
	v_fma_f64 v[177:178], v[44:45], s[20:21], -v[161:162]
	v_fma_f64 v[159:160], v[46:47], s[20:21], -v[159:160]
	v_fma_f64 v[161:162], v[44:45], s[20:21], v[161:162]
	v_add_f64 v[117:118], v[193:194], v[117:118]
	v_fma_f64 v[179:180], v[44:45], s[16:17], -v[119:120]
	v_fma_f64 v[119:120], v[44:45], s[16:17], v[119:120]
	v_add_f64 v[74:75], v[74:75], v[121:122]
	v_fma_f64 v[121:122], v[66:67], s[18:19], v[137:138]
	v_add_f64 v[24:25], v[24:25], v[32:33]
	v_add_f64 v[20:21], v[207:208], v[28:29]
	;; [unrolled: 1-line block ×5, first 2 shown]
	v_fma_f64 v[137:138], v[66:67], s[18:19], -v[137:138]
	v_mul_f64 v[30:31], v[62:63], s[2:3]
	v_add_f64 v[18:19], v[42:43], v[18:19]
	v_fma_f64 v[141:142], v[44:45], s[12:13], v[141:142]
	v_mul_f64 v[34:35], v[58:59], s[24:25]
	v_add_f64 v[95:96], v[95:96], v[113:114]
	v_fma_f64 v[113:114], v[64:65], s[10:11], v[131:132]
	v_add_f64 v[10:11], v[14:15], v[10:11]
	v_add_f64 v[8:9], v[12:13], v[8:9]
	v_fma_f64 v[145:146], v[64:65], s[18:19], v[145:146]
	v_add_f64 v[83:84], v[199:200], v[83:84]
	v_add_f64 v[87:88], v[87:88], v[97:98]
	v_fma_f64 v[97:98], v[46:47], s[10:11], v[135:136]
	v_fma_f64 v[135:136], v[46:47], s[10:11], -v[135:136]
	v_add_f64 v[72:73], v[85:86], v[72:73]
	v_mul_f64 v[85:86], v[60:61], s[24:25]
	v_fma_f64 v[115:116], v[46:47], s[14:15], v[163:164]
	v_add_f64 v[111:112], v[111:112], v[157:158]
	v_fma_f64 v[157:158], v[44:45], s[14:15], -v[165:166]
	v_fma_f64 v[163:164], v[46:47], s[14:15], -v[163:164]
	v_fma_f64 v[165:166], v[44:45], s[14:15], v[165:166]
	v_fma_f64 v[183:184], v[46:47], s[18:19], v[68:69]
	v_mul_f64 v[60:61], v[60:61], s[2:3]
	v_add_f64 v[42:43], v[175:176], v[101:102]
	v_fma_f64 v[46:47], v[46:47], s[18:19], -v[68:69]
	v_fma_f64 v[68:69], v[44:45], s[18:19], -v[70:71]
	v_fma_f64 v[44:45], v[44:45], s[18:19], v[70:71]
	v_add_f64 v[16:17], v[40:41], v[16:17]
	v_fma_f64 v[70:71], v[66:67], s[16:17], -v[103:104]
	v_fma_f64 v[103:104], v[64:65], s[16:17], v[107:108]
	v_add_f64 v[101:102], v[125:126], v[117:118]
	v_add_f64 v[36:37], v[36:37], v[74:75]
	v_add_f64 v[74:75], v[177:178], v[89:90]
	v_add_f64 v[76:77], v[159:160], v[76:77]
	v_add_f64 v[89:90], v[161:162], v[91:92]
	v_fma_f64 v[117:118], v[64:65], s[12:13], -v[171:172]
	v_fma_f64 v[125:126], v[66:67], s[20:21], v[38:39]
	v_fma_f64 v[38:39], v[66:67], s[20:21], -v[38:39]
	v_mul_f64 v[62:63], v[56:57], s[24:25]
	v_add_f64 v[87:88], v[141:142], v[87:88]
	v_add_f64 v[40:41], v[135:136], v[105:106]
	;; [unrolled: 1-line block ×6, first 2 shown]
	v_fma_f64 v[133:134], v[64:65], s[16:17], -v[107:108]
	v_add_f64 v[107:108], v[209:210], v[147:148]
	v_add_f64 v[91:92], v[151:152], v[111:112]
	;; [unrolled: 1-line block ×9, first 2 shown]
	v_fma_f64 v[26:27], v[66:67], s[10:11], v[139:140]
	v_fma_f64 v[28:29], v[64:65], s[10:11], -v[131:132]
	v_fma_f64 v[115:116], v[66:67], s[12:13], v[169:170]
	v_fma_f64 v[119:120], v[66:67], s[12:13], -v[169:170]
	v_fma_f64 v[129:130], v[64:65], s[20:21], -v[85:86]
	v_fma_f64 v[85:86], v[64:65], s[20:21], v[85:86]
	v_fma_f64 v[131:132], v[66:67], s[14:15], v[30:31]
	v_mul_f64 v[135:136], v[58:59], s[6:7]
	v_fma_f64 v[30:31], v[66:67], s[14:15], -v[30:31]
	v_mul_f64 v[97:98], v[58:59], s[22:23]
	v_mul_f64 v[99:100], v[56:57], s[22:23]
	v_add_f64 v[18:19], v[46:47], v[18:19]
	v_add_f64 v[16:17], v[44:45], v[16:17]
	v_mul_f64 v[44:45], v[56:57], s[0:1]
	v_add_f64 v[101:102], v[103:104], v[101:102]
	v_fma_f64 v[46:47], v[48:49], s[20:21], -v[62:63]
	v_fma_f64 v[62:63], v[48:49], s[20:21], v[62:63]
	v_add_f64 v[87:88], v[145:146], v[87:88]
	v_add_f64 v[40:41], v[70:71], v[40:41]
	;; [unrolled: 1-line block ×3, first 2 shown]
	v_fma_f64 v[121:122], v[64:65], s[12:13], v[171:172]
	v_add_f64 v[83:84], v[137:138], v[83:84]
	v_add_f64 v[93:94], v[109:110], v[93:94]
	v_fma_f64 v[109:110], v[66:67], s[10:11], -v[139:140]
	v_add_f64 v[42:43], v[133:134], v[42:43]
	v_mul_f64 v[133:134], v[56:57], s[6:7]
	v_mul_f64 v[137:138], v[58:59], s[2:3]
	;; [unrolled: 1-line block ×4, first 2 shown]
	v_fma_f64 v[56:57], v[64:65], s[14:15], v[60:61]
	v_add_f64 v[68:69], v[68:69], v[107:108]
	v_fma_f64 v[60:61], v[64:65], s[14:15], -v[60:61]
	v_fma_f64 v[70:71], v[50:51], s[20:21], v[34:35]
	v_fma_f64 v[34:35], v[50:51], s[20:21], -v[34:35]
	v_add_f64 v[26:27], v[26:27], v[36:37]
	v_add_f64 v[28:29], v[28:29], v[74:75]
	;; [unrolled: 1-line block ×7, first 2 shown]
	v_fma_f64 v[20:21], v[50:51], s[12:13], v[135:136]
	v_fma_f64 v[64:65], v[50:51], s[18:19], v[97:98]
	v_fma_f64 v[103:104], v[48:49], s[18:19], -v[99:100]
	v_fma_f64 v[97:98], v[50:51], s[18:19], -v[97:98]
	v_fma_f64 v[99:100], v[48:49], s[18:19], v[99:100]
	v_add_f64 v[72:73], v[181:182], v[72:73]
	v_add_f64 v[85:86], v[131:132], v[22:23]
	v_add_f64 v[107:108], v[10:11], v[6:7]
	v_add_f64 v[139:140], v[8:9], v[4:5]
	v_add_f64 v[8:9], v[62:63], v[87:88]
	v_add_f64 v[36:37], v[109:110], v[76:77]
	v_add_f64 v[76:77], v[115:116], v[91:92]
	v_add_f64 v[91:92], v[119:120], v[95:96]
	v_add_f64 v[95:96], v[121:122], v[111:112]
	v_fma_f64 v[119:120], v[50:51], s[16:17], -v[123:124]
	v_fma_f64 v[121:122], v[48:49], s[16:17], v[127:128]
	v_fma_f64 v[113:114], v[48:49], s[12:13], -v[133:134]
	v_fma_f64 v[117:118], v[50:51], s[14:15], -v[137:138]
	v_fma_f64 v[125:126], v[48:49], s[14:15], v[66:67]
	v_add_f64 v[109:110], v[129:130], v[12:13]
	v_fma_f64 v[111:112], v[50:51], s[12:13], -v[135:136]
	v_fma_f64 v[129:130], v[48:49], s[12:13], v[133:134]
	v_fma_f64 v[115:116], v[50:51], s[14:15], v[137:138]
	v_fma_f64 v[66:67], v[48:49], s[14:15], -v[66:67]
	v_fma_f64 v[123:124], v[50:51], s[16:17], v[123:124]
	v_fma_f64 v[127:128], v[48:49], s[16:17], -v[127:128]
	;; [unrolled: 2-line block ×3, first 2 shown]
	v_add_f64 v[58:59], v[30:31], v[18:19]
	v_fma_f64 v[133:134], v[48:49], s[10:11], v[44:45]
	v_add_f64 v[56:57], v[56:57], v[16:17]
	v_fma_f64 v[44:45], v[48:49], s[10:11], -v[44:45]
	v_add_f64 v[60:61], v[60:61], v[68:69]
	v_add_f64 v[6:7], v[70:71], v[32:33]
	v_add_f64 v[10:11], v[34:35], v[83:84]
	v_add_f64 v[22:23], v[20:21], v[26:27]
	v_add_f64 v[18:19], v[97:98], v[40:41]
	v_add_f64 v[16:17], v[99:100], v[101:102]
	v_add_f64 v[4:5], v[46:47], v[72:73]
	v_add_f64 v[14:15], v[64:65], v[93:94]
	v_add_f64 v[12:13], v[103:104], v[42:43]
	v_add_f64 v[2:3], v[107:108], v[2:3]
	v_add_f64 v[0:1], v[139:140], v[0:1]
	v_add_f64 v[34:35], v[119:120], v[24:25]
	v_add_f64 v[32:33], v[121:122], v[38:39]
	v_add_f64 v[20:21], v[113:114], v[28:29]
	v_add_f64 v[30:31], v[117:118], v[91:92]
	v_add_f64 v[28:29], v[125:126], v[95:96]
	v_add_f64 v[26:27], v[111:112], v[36:37]
	v_add_f64 v[24:25], v[129:130], v[74:75]
	v_add_f64 v[38:39], v[115:116], v[76:77]
	v_add_f64 v[36:37], v[66:67], v[89:90]
	v_add_f64 v[42:43], v[123:124], v[105:106]
	v_add_f64 v[40:41], v[127:128], v[109:110]
	v_add_f64 v[46:47], v[131:132], v[85:86]
	v_add_f64 v[50:51], v[50:51], v[58:59]
	v_add_f64 v[48:49], v[133:134], v[56:57]
	v_mul_u32_u24_e32 v56, 0xc0, v52
	v_add_f64 v[44:45], v[44:45], v[60:61]
	s_delay_alu instid0(VALU_DEP_2)
	v_add3_u32 v53, v53, v56, v82
	ds_store_b128 v53, v[32:35] offset:32
	ds_store_b128 v53, v[28:31] offset:48
	;; [unrolled: 1-line block ×11, first 2 shown]
	ds_store_b128 v53, v[0:3]
	ds_store_b128 v53, v[44:47] offset:192
.LBB0_13:
	s_or_b32 exec_lo, exec_lo, s33
	v_add_nc_u16 v5, v52, 52
	v_add_nc_u32_e32 v2, 26, v52
	v_add_nc_u32_e32 v3, -13, v52
	v_cmp_gt_u32_e64 s0, 13, v52
	s_waitcnt lgkmcnt(0)
	v_and_b32_e32 v1, 0xff, v5
	s_barrier
	buffer_gl0_inv
	v_cndmask_b32_e64 v53, v3, v52, s0
	s_mov_b32 s3, 0x3febb67a
	v_mul_lo_u16 v4, 0x4f, v1
	v_dual_mov_b32 v1, 0 :: v_dual_and_b32 v0, 0xff, v2
	s_delay_alu instid0(VALU_DEP_2) | instskip(NEXT) | instid1(VALU_DEP_2)
	v_lshrrev_b16 v107, 10, v4
	v_mul_lo_u16 v0, 0x4f, v0
	s_delay_alu instid0(VALU_DEP_2) | instskip(NEXT) | instid1(VALU_DEP_2)
	v_mul_lo_u16 v6, v107, 13
	v_lshrrev_b16 v51, 10, v0
	v_mul_i32_i24_e32 v0, 3, v53
	v_lshlrev_b32_e32 v53, 4, v53
	s_delay_alu instid0(VALU_DEP_3) | instskip(SKIP_1) | instid1(VALU_DEP_2)
	v_mul_lo_u16 v3, v51, 13
	v_and_b32_e32 v51, 0xffff, v51
	v_sub_nc_u16 v7, v2, v3
	v_lshlrev_b64 v[3:4], 4, v[0:1]
	v_sub_nc_u16 v0, v5, v6
	s_delay_alu instid0(VALU_DEP_4) | instskip(NEXT) | instid1(VALU_DEP_4)
	v_mad_u32_u24 v51, 0x340, v51, 0
	v_and_b32_e32 v108, 0xff, v7
	s_delay_alu instid0(VALU_DEP_4) | instskip(NEXT) | instid1(VALU_DEP_4)
	v_add_co_u32 v11, s0, s4, v3
	v_and_b32_e32 v109, 0xff, v0
	s_delay_alu instid0(VALU_DEP_3)
	v_mul_u32_u24_e32 v13, 3, v108
	v_add_co_ci_u32_e64 v12, s0, s5, v4, s0
	s_clause 0x1
	global_load_b128 v[3:6], v[11:12], off offset:16
	global_load_b128 v[7:10], v[11:12], off
	v_lshlrev_b32_e32 v0, 4, v13
	v_mul_u32_u24_e32 v19, 3, v109
	s_clause 0x1
	global_load_b128 v[11:14], v[11:12], off offset:32
	global_load_b128 v[15:18], v0, s[4:5]
	v_cmp_lt_u32_e64 s0, 12, v52
	v_lshlrev_b32_e32 v35, 4, v19
	s_clause 0x4
	global_load_b128 v[19:22], v0, s[4:5] offset:16
	global_load_b128 v[23:26], v0, s[4:5] offset:32
	global_load_b128 v[27:30], v35, s[4:5]
	global_load_b128 v[31:34], v35, s[4:5] offset:16
	global_load_b128 v[35:38], v35, s[4:5] offset:32
	ds_load_b128 v[39:42], v81 offset:1248
	ds_load_b128 v[43:46], v81 offset:2496
	;; [unrolled: 1-line block ×10, first 2 shown]
	v_lshlrev_b32_e32 v0, 1, v52
	s_waitcnt vmcnt(8) lgkmcnt(8)
	v_mul_f64 v[91:92], v[45:46], v[5:6]
	s_waitcnt vmcnt(7)
	v_mul_f64 v[76:77], v[41:42], v[9:10]
	v_mul_f64 v[9:10], v[39:40], v[9:10]
	;; [unrolled: 1-line block ×3, first 2 shown]
	s_waitcnt vmcnt(6) lgkmcnt(7)
	v_mul_f64 v[93:94], v[49:50], v[13:14]
	v_mul_f64 v[13:14], v[47:48], v[13:14]
	s_waitcnt vmcnt(5) lgkmcnt(6)
	v_mul_f64 v[95:96], v[58:59], v[17:18]
	v_mul_f64 v[17:18], v[56:57], v[17:18]
	;; [unrolled: 3-line block ×7, first 2 shown]
	v_fma_f64 v[43:44], v[43:44], v[3:4], v[91:92]
	v_fma_f64 v[39:40], v[39:40], v[7:8], v[76:77]
	v_fma_f64 v[41:42], v[41:42], v[7:8], -v[9:10]
	v_fma_f64 v[45:46], v[45:46], v[3:4], -v[5:6]
	ds_load_b128 v[3:6], v78
	ds_load_b128 v[7:10], v81 offset:416
	v_fma_f64 v[47:48], v[47:48], v[11:12], v[93:94]
	v_fma_f64 v[11:12], v[49:50], v[11:12], -v[13:14]
	v_fma_f64 v[13:14], v[56:57], v[15:16], v[95:96]
	v_fma_f64 v[15:16], v[58:59], v[15:16], -v[17:18]
	v_fma_f64 v[17:18], v[60:61], v[19:20], v[97:98]
	v_fma_f64 v[19:20], v[62:63], v[19:20], -v[21:22]
	v_fma_f64 v[21:22], v[64:65], v[23:24], v[99:100]
	v_fma_f64 v[23:24], v[66:67], v[23:24], -v[25:26]
	v_fma_f64 v[25:26], v[68:69], v[27:28], v[101:102]
	v_fma_f64 v[27:28], v[70:71], v[27:28], -v[29:30]
	v_fma_f64 v[29:30], v[72:73], v[31:32], v[103:104]
	v_fma_f64 v[31:32], v[74:75], v[31:32], -v[33:34]
	v_fma_f64 v[33:34], v[83:84], v[35:36], v[105:106]
	v_fma_f64 v[35:36], v[85:86], v[35:36], -v[37:38]
	v_cndmask_b32_e64 v68, 0, 0x340, s0
	s_waitcnt lgkmcnt(0)
	s_barrier
	buffer_gl0_inv
	v_add_f64 v[37:38], v[3:4], -v[43:44]
	v_add_f64 v[43:44], v[5:6], -v[45:46]
	;; [unrolled: 1-line block ×12, first 2 shown]
	v_fma_f64 v[33:34], v[3:4], 2.0, -v[37:38]
	v_fma_f64 v[60:61], v[5:6], 2.0, -v[43:44]
	v_fma_f64 v[23:24], v[39:40], 2.0, -v[45:46]
	v_fma_f64 v[31:32], v[41:42], 2.0, -v[11:12]
	v_add_f64 v[3:4], v[37:38], v[11:12]
	v_add_f64 v[5:6], v[43:44], -v[45:46]
	v_fma_f64 v[41:42], v[7:8], 2.0, -v[47:48]
	v_fma_f64 v[62:63], v[9:10], 2.0, -v[49:50]
	v_fma_f64 v[35:36], v[13:14], 2.0, -v[17:18]
	v_fma_f64 v[39:40], v[15:16], 2.0, -v[19:20]
	v_add_f64 v[7:8], v[47:48], v[19:20]
	v_add_f64 v[9:10], v[49:50], -v[17:18]
	;; [unrolled: 6-line block ×3, first 2 shown]
	v_add_f64 v[11:12], v[33:34], -v[23:24]
	v_add_f64 v[13:14], v[60:61], -v[31:32]
	v_fma_f64 v[29:30], v[43:44], 2.0, -v[5:6]
	v_add_f64 v[19:20], v[41:42], -v[35:36]
	v_add_f64 v[21:22], v[62:63], -v[39:40]
	v_fma_f64 v[31:32], v[47:48], 2.0, -v[7:8]
	;; [unrolled: 3-line block ×3, first 2 shown]
	v_fma_f64 v[39:40], v[56:57], 2.0, -v[15:16]
	v_lshlrev_b64 v[56:57], 4, v[0:1]
	v_lshlrev_b32_e32 v0, 1, v2
	s_delay_alu instid0(VALU_DEP_2) | instskip(NEXT) | instid1(VALU_DEP_1)
	v_add_co_u32 v56, s0, s4, v56
	v_add_co_ci_u32_e64 v57, s0, s5, v57, s0
	v_fma_f64 v[35:36], v[33:34], 2.0, -v[11:12]
	v_fma_f64 v[37:38], v[60:61], 2.0, -v[13:14]
	;; [unrolled: 1-line block ×3, first 2 shown]
	v_lshlrev_b32_e32 v60, 4, v109
	v_fma_f64 v[43:44], v[41:42], 2.0, -v[19:20]
	v_fma_f64 v[45:46], v[62:63], 2.0, -v[21:22]
	;; [unrolled: 1-line block ×3, first 2 shown]
	v_add_nc_u32_e32 v58, 0, v68
	v_and_b32_e32 v59, 0xffff, v107
	v_fma_f64 v[47:48], v[64:65], 2.0, -v[23:24]
	v_fma_f64 v[49:50], v[66:67], 2.0, -v[25:26]
	s_delay_alu instid0(VALU_DEP_4) | instskip(NEXT) | instid1(VALU_DEP_4)
	v_add3_u32 v2, v58, v53, v82
	v_mad_u32_u24 v53, 0x340, v59, 0
	v_lshlrev_b64 v[58:59], 4, v[0:1]
	v_lshlrev_b32_e32 v0, 4, v108
	s_delay_alu instid0(VALU_DEP_2) | instskip(NEXT) | instid1(VALU_DEP_1)
	v_add_co_u32 v58, s0, s4, v58
	v_add_co_ci_u32_e64 v59, s0, s5, v59, s0
	s_delay_alu instid0(VALU_DEP_3)
	v_add3_u32 v0, v51, v0, v82
	v_add3_u32 v51, v53, v60, v82
	v_mov_b32_e32 v53, v1
	s_mov_b32 s0, 0xe8584caa
	s_mov_b32 s1, 0xbfebb67a
	;; [unrolled: 1-line block ×3, first 2 shown]
	ds_store_b128 v2, v[11:14] offset:416
	ds_store_b128 v2, v[3:6] offset:624
	ds_store_b128 v2, v[35:38]
	ds_store_b128 v2, v[27:30] offset:208
	ds_store_b128 v0, v[19:22] offset:416
	ds_store_b128 v0, v[7:10] offset:624
	ds_store_b128 v0, v[43:46]
	ds_store_b128 v0, v[31:34] offset:208
	ds_store_b128 v51, v[47:50]
	ds_store_b128 v51, v[39:42] offset:208
	ds_store_b128 v51, v[23:26] offset:416
	;; [unrolled: 1-line block ×3, first 2 shown]
	s_waitcnt lgkmcnt(0)
	s_barrier
	buffer_gl0_inv
	s_clause 0x3
	global_load_b128 v[2:5], v[56:57], off offset:624
	global_load_b128 v[6:9], v[56:57], off offset:640
	;; [unrolled: 1-line block ×4, first 2 shown]
	ds_load_b128 v[18:21], v81 offset:1664
	ds_load_b128 v[22:25], v81 offset:3328
	;; [unrolled: 1-line block ×8, first 2 shown]
	s_waitcnt vmcnt(3) lgkmcnt(7)
	v_mul_f64 v[50:51], v[20:21], v[4:5]
	v_mul_f64 v[56:57], v[18:19], v[4:5]
	s_waitcnt vmcnt(2) lgkmcnt(6)
	v_mul_f64 v[58:59], v[24:25], v[8:9]
	v_mul_f64 v[60:61], v[22:23], v[8:9]
	;; [unrolled: 3-line block ×4, first 2 shown]
	s_waitcnt lgkmcnt(3)
	v_mul_f64 v[70:71], v[36:37], v[4:5]
	s_waitcnt lgkmcnt(2)
	v_mul_f64 v[72:73], v[40:41], v[8:9]
	v_mul_f64 v[4:5], v[34:35], v[4:5]
	;; [unrolled: 1-line block ×3, first 2 shown]
	s_waitcnt lgkmcnt(1)
	v_mul_f64 v[74:75], v[44:45], v[12:13]
	v_mul_f64 v[12:13], v[42:43], v[12:13]
	s_waitcnt lgkmcnt(0)
	v_mul_f64 v[76:77], v[48:49], v[16:17]
	v_mul_f64 v[16:17], v[46:47], v[16:17]
	v_fma_f64 v[18:19], v[18:19], v[2:3], v[50:51]
	v_fma_f64 v[20:21], v[20:21], v[2:3], -v[56:57]
	v_fma_f64 v[22:23], v[22:23], v[6:7], v[58:59]
	v_fma_f64 v[24:25], v[24:25], v[6:7], -v[60:61]
	v_fma_f64 v[26:27], v[26:27], v[10:11], v[62:63]
	v_fma_f64 v[28:29], v[28:29], v[10:11], -v[64:65]
	v_fma_f64 v[30:31], v[30:31], v[14:15], v[66:67]
	v_fma_f64 v[32:33], v[32:33], v[14:15], -v[68:69]
	v_fma_f64 v[34:35], v[34:35], v[2:3], v[70:71]
	v_fma_f64 v[38:39], v[38:39], v[6:7], v[72:73]
	v_fma_f64 v[36:37], v[36:37], v[2:3], -v[4:5]
	v_fma_f64 v[40:41], v[40:41], v[6:7], -v[8:9]
	v_fma_f64 v[42:43], v[42:43], v[10:11], v[74:75]
	v_fma_f64 v[44:45], v[44:45], v[10:11], -v[12:13]
	v_fma_f64 v[46:47], v[46:47], v[14:15], v[76:77]
	v_fma_f64 v[48:49], v[48:49], v[14:15], -v[16:17]
	ds_load_b128 v[2:5], v78
	ds_load_b128 v[6:9], v81 offset:416
	ds_load_b128 v[10:13], v81 offset:832
	;; [unrolled: 1-line block ×3, first 2 shown]
	s_waitcnt lgkmcnt(0)
	s_barrier
	buffer_gl0_inv
	v_add_f64 v[70:71], v[2:3], v[18:19]
	v_add_f64 v[50:51], v[18:19], v[22:23]
	v_add_f64 v[56:57], v[20:21], v[24:25]
	v_add_f64 v[72:73], v[20:21], -v[24:25]
	v_add_f64 v[20:21], v[4:5], v[20:21]
	v_add_f64 v[58:59], v[26:27], v[30:31]
	;; [unrolled: 1-line block ×3, first 2 shown]
	v_add_f64 v[74:75], v[18:19], -v[22:23]
	v_add_f64 v[62:63], v[34:35], v[38:39]
	v_add_f64 v[18:19], v[6:7], v[26:27]
	;; [unrolled: 1-line block ×10, first 2 shown]
	v_add_f64 v[90:91], v[28:29], -v[32:33]
	v_add_f64 v[92:93], v[44:45], -v[48:49]
	v_fma_f64 v[50:51], v[50:51], -0.5, v[2:3]
	v_fma_f64 v[28:29], v[56:57], -0.5, v[4:5]
	v_add_f64 v[56:57], v[26:27], -v[30:31]
	v_add_f64 v[2:3], v[70:71], v[22:23]
	v_fma_f64 v[6:7], v[58:59], -0.5, v[6:7]
	v_fma_f64 v[8:9], v[60:61], -0.5, v[8:9]
	v_add_f64 v[58:59], v[36:37], -v[40:41]
	v_add_f64 v[60:61], v[34:35], -v[38:39]
	v_fma_f64 v[62:63], v[62:63], -0.5, v[10:11]
	v_fma_f64 v[44:45], v[64:65], -0.5, v[12:13]
	v_add_f64 v[64:65], v[42:43], -v[46:47]
	v_add_f64 v[4:5], v[20:21], v[24:25]
	v_fma_f64 v[66:67], v[66:67], -0.5, v[14:15]
	v_fma_f64 v[68:69], v[68:69], -0.5, v[16:17]
	v_add_f64 v[10:11], v[18:19], v[30:31]
	v_add_f64 v[12:13], v[76:77], v[32:33]
	;; [unrolled: 1-line block ×6, first 2 shown]
	v_fma_f64 v[22:23], v[72:73], s[0:1], v[50:51]
	v_fma_f64 v[24:25], v[74:75], s[2:3], v[28:29]
	;; [unrolled: 1-line block ×16, first 2 shown]
	v_lshlrev_b64 v[8:9], 4, v[52:53]
	s_add_u32 s1, s4, 0x12b0
	s_addc_u32 s2, s5, 0
	ds_store_b128 v81, v[2:5]
	ds_store_b128 v81, v[10:13] offset:416
	ds_store_b128 v81, v[14:17] offset:2496
	;; [unrolled: 1-line block ×11, first 2 shown]
	v_add_co_u32 v50, s0, s4, v8
	s_delay_alu instid0(VALU_DEP_1) | instskip(SKIP_1) | instid1(VALU_DEP_2)
	v_add_co_ci_u32_e64 v51, s0, s5, v9, s0
	s_waitcnt lgkmcnt(0)
	v_add_co_u32 v22, s0, 0x1000, v50
	s_barrier
	buffer_gl0_inv
	s_clause 0x2
	global_load_b128 v[0:3], v[50:51], off offset:2288
	global_load_b128 v[4:7], v[50:51], off offset:2704
	;; [unrolled: 1-line block ×3, first 2 shown]
	v_add_co_ci_u32_e64 v23, s0, 0, v51, s0
	s_clause 0x2
	global_load_b128 v[14:17], v[50:51], off offset:3536
	global_load_b128 v[18:21], v[50:51], off offset:3952
	;; [unrolled: 1-line block ×3, first 2 shown]
	ds_load_b128 v[26:29], v81 offset:2496
	ds_load_b128 v[30:33], v81 offset:2912
	;; [unrolled: 1-line block ×6, first 2 shown]
	s_mov_b32 s3, exec_lo
	s_waitcnt vmcnt(5) lgkmcnt(5)
	v_mul_f64 v[50:51], v[28:29], v[2:3]
	v_mul_f64 v[2:3], v[26:27], v[2:3]
	s_waitcnt vmcnt(4) lgkmcnt(4)
	v_mul_f64 v[56:57], v[32:33], v[6:7]
	v_mul_f64 v[6:7], v[30:31], v[6:7]
	s_waitcnt vmcnt(3) lgkmcnt(3)
	v_mul_f64 v[58:59], v[36:37], v[12:13]
	v_mul_f64 v[12:13], v[34:35], v[12:13]
	s_waitcnt vmcnt(2) lgkmcnt(2)
	v_mul_f64 v[60:61], v[40:41], v[16:17]
	v_mul_f64 v[16:17], v[38:39], v[16:17]
	s_waitcnt vmcnt(1) lgkmcnt(1)
	v_mul_f64 v[62:63], v[44:45], v[20:21]
	v_mul_f64 v[20:21], v[42:43], v[20:21]
	s_waitcnt vmcnt(0) lgkmcnt(0)
	v_mul_f64 v[64:65], v[48:49], v[24:25]
	v_mul_f64 v[24:25], v[46:47], v[24:25]
	v_fma_f64 v[26:27], v[26:27], v[0:1], v[50:51]
	v_fma_f64 v[28:29], v[28:29], v[0:1], -v[2:3]
	v_fma_f64 v[30:31], v[30:31], v[4:5], v[56:57]
	v_fma_f64 v[32:33], v[32:33], v[4:5], -v[6:7]
	;; [unrolled: 2-line block ×6, first 2 shown]
	ds_load_b128 v[0:3], v78
	ds_load_b128 v[4:7], v81 offset:416
	ds_load_b128 v[10:13], v81 offset:832
	;; [unrolled: 1-line block ×5, first 2 shown]
	s_waitcnt lgkmcnt(0)
	s_barrier
	buffer_gl0_inv
	v_add_f64 v[26:27], v[0:1], -v[26:27]
	v_add_f64 v[28:29], v[2:3], -v[28:29]
	;; [unrolled: 1-line block ×12, first 2 shown]
	v_fma_f64 v[0:1], v[0:1], 2.0, -v[26:27]
	v_fma_f64 v[2:3], v[2:3], 2.0, -v[28:29]
	;; [unrolled: 1-line block ×12, first 2 shown]
	ds_store_b128 v81, v[26:29] offset:2496
	ds_store_b128 v81, v[30:33] offset:2912
	;; [unrolled: 1-line block ×6, first 2 shown]
	ds_store_b128 v81, v[0:3]
	ds_store_b128 v81, v[4:7] offset:416
	ds_store_b128 v81, v[10:13] offset:832
	;; [unrolled: 1-line block ×5, first 2 shown]
	s_waitcnt lgkmcnt(0)
	s_barrier
	buffer_gl0_inv
	ds_load_b128 v[4:7], v78
	v_sub_nc_u32_e32 v14, v80, v79
                                        ; implicit-def: $vgpr0_vgpr1
                                        ; implicit-def: $vgpr10_vgpr11
                                        ; implicit-def: $vgpr12_vgpr13
	v_cmpx_ne_u32_e32 0, v52
	s_xor_b32 s3, exec_lo, s3
	s_cbranch_execz .LBB0_15
; %bb.14:
	v_add_co_u32 v0, s0, s1, v8
	s_delay_alu instid0(VALU_DEP_1)
	v_add_co_ci_u32_e64 v1, s0, s2, v9, s0
                                        ; implicit-def: $vgpr80
	global_load_b128 v[15:18], v[0:1], off
	ds_load_b128 v[0:3], v14 offset:4992
	s_waitcnt lgkmcnt(0)
	v_add_f64 v[10:11], v[4:5], -v[0:1]
	v_add_f64 v[12:13], v[6:7], v[2:3]
	v_add_f64 v[2:3], v[6:7], -v[2:3]
	v_add_f64 v[0:1], v[4:5], v[0:1]
	s_delay_alu instid0(VALU_DEP_4) | instskip(NEXT) | instid1(VALU_DEP_4)
	v_mul_f64 v[6:7], v[10:11], 0.5
	v_mul_f64 v[4:5], v[12:13], 0.5
	s_delay_alu instid0(VALU_DEP_4) | instskip(SKIP_1) | instid1(VALU_DEP_3)
	v_mul_f64 v[2:3], v[2:3], 0.5
	s_waitcnt vmcnt(0)
	v_mul_f64 v[10:11], v[6:7], v[17:18]
	s_delay_alu instid0(VALU_DEP_2) | instskip(SKIP_1) | instid1(VALU_DEP_3)
	v_fma_f64 v[12:13], v[4:5], v[17:18], v[2:3]
	v_fma_f64 v[2:3], v[4:5], v[17:18], -v[2:3]
	v_fma_f64 v[19:20], v[0:1], 0.5, v[10:11]
	v_fma_f64 v[0:1], v[0:1], 0.5, -v[10:11]
	s_delay_alu instid0(VALU_DEP_4) | instskip(NEXT) | instid1(VALU_DEP_4)
	v_fma_f64 v[12:13], -v[15:16], v[6:7], v[12:13]
	v_fma_f64 v[2:3], -v[15:16], v[6:7], v[2:3]
	s_delay_alu instid0(VALU_DEP_4) | instskip(NEXT) | instid1(VALU_DEP_4)
	v_fma_f64 v[10:11], v[4:5], v[15:16], v[19:20]
	v_fma_f64 v[0:1], -v[4:5], v[15:16], v[0:1]
                                        ; implicit-def: $vgpr4_vgpr5
.LBB0_15:
	s_and_not1_saveexec_b32 s0, s3
	s_cbranch_execz .LBB0_17
; %bb.16:
	s_waitcnt lgkmcnt(0)
	v_add_f64 v[10:11], v[4:5], v[6:7]
	v_add_f64 v[0:1], v[4:5], -v[6:7]
	ds_load_b64 v[4:5], v80 offset:2504
	v_mov_b32_e32 v12, 0
	v_mov_b32_e32 v13, 0
	s_delay_alu instid0(VALU_DEP_1)
	v_dual_mov_b32 v2, v12 :: v_dual_mov_b32 v3, v13
	s_waitcnt lgkmcnt(0)
	v_xor_b32_e32 v5, 0x80000000, v5
	ds_store_b64 v80, v[4:5] offset:2504
.LBB0_17:
	s_or_b32 exec_lo, exec_lo, s0
	v_add_co_u32 v19, s0, s1, v8
	s_delay_alu instid0(VALU_DEP_1)
	v_add_co_ci_u32_e64 v20, s0, s2, v9, s0
	s_waitcnt lgkmcnt(0)
	s_clause 0x1
	global_load_b128 v[4:7], v[19:20], off offset:416
	global_load_b128 v[15:18], v[19:20], off offset:832
	ds_store_2addr_b64 v78, v[10:11], v[12:13] offset1:1
	ds_store_b128 v14, v[0:3] offset:4992
	ds_load_b128 v[0:3], v78 offset:416
	ds_load_b128 v[10:13], v14 offset:4576
	s_waitcnt lgkmcnt(0)
	v_add_f64 v[21:22], v[0:1], -v[10:11]
	v_add_f64 v[23:24], v[2:3], v[12:13]
	v_add_f64 v[2:3], v[2:3], -v[12:13]
	v_add_f64 v[0:1], v[0:1], v[10:11]
	s_delay_alu instid0(VALU_DEP_4) | instskip(NEXT) | instid1(VALU_DEP_4)
	v_mul_f64 v[12:13], v[21:22], 0.5
	v_mul_f64 v[21:22], v[23:24], 0.5
	s_delay_alu instid0(VALU_DEP_4) | instskip(SKIP_1) | instid1(VALU_DEP_3)
	v_mul_f64 v[2:3], v[2:3], 0.5
	s_waitcnt vmcnt(1)
	v_mul_f64 v[10:11], v[12:13], v[6:7]
	s_delay_alu instid0(VALU_DEP_2) | instskip(SKIP_1) | instid1(VALU_DEP_3)
	v_fma_f64 v[23:24], v[21:22], v[6:7], v[2:3]
	v_fma_f64 v[2:3], v[21:22], v[6:7], -v[2:3]
	v_fma_f64 v[6:7], v[0:1], 0.5, v[10:11]
	v_fma_f64 v[0:1], v[0:1], 0.5, -v[10:11]
	s_delay_alu instid0(VALU_DEP_4) | instskip(NEXT) | instid1(VALU_DEP_4)
	v_fma_f64 v[10:11], -v[4:5], v[12:13], v[23:24]
	v_fma_f64 v[2:3], -v[4:5], v[12:13], v[2:3]
	s_delay_alu instid0(VALU_DEP_4) | instskip(NEXT) | instid1(VALU_DEP_4)
	v_fma_f64 v[12:13], v[21:22], v[4:5], v[6:7]
	v_fma_f64 v[0:1], -v[21:22], v[4:5], v[0:1]
	global_load_b128 v[4:7], v[19:20], off offset:1248
	ds_store_2addr_b64 v78, v[12:13], v[10:11] offset0:52 offset1:53
	ds_store_b128 v14, v[0:3] offset:4576
	ds_load_b128 v[0:3], v78 offset:832
	ds_load_b128 v[10:13], v14 offset:4160
	s_waitcnt lgkmcnt(0)
	v_add_f64 v[21:22], v[0:1], -v[10:11]
	v_add_f64 v[23:24], v[2:3], v[12:13]
	v_add_f64 v[2:3], v[2:3], -v[12:13]
	v_add_f64 v[0:1], v[0:1], v[10:11]
	s_delay_alu instid0(VALU_DEP_4) | instskip(NEXT) | instid1(VALU_DEP_4)
	v_mul_f64 v[12:13], v[21:22], 0.5
	v_mul_f64 v[21:22], v[23:24], 0.5
	s_delay_alu instid0(VALU_DEP_4) | instskip(SKIP_1) | instid1(VALU_DEP_3)
	v_mul_f64 v[2:3], v[2:3], 0.5
	s_waitcnt vmcnt(1)
	v_mul_f64 v[10:11], v[12:13], v[17:18]
	s_delay_alu instid0(VALU_DEP_2) | instskip(SKIP_1) | instid1(VALU_DEP_3)
	v_fma_f64 v[23:24], v[21:22], v[17:18], v[2:3]
	v_fma_f64 v[2:3], v[21:22], v[17:18], -v[2:3]
	v_fma_f64 v[17:18], v[0:1], 0.5, v[10:11]
	v_fma_f64 v[0:1], v[0:1], 0.5, -v[10:11]
	s_delay_alu instid0(VALU_DEP_4) | instskip(NEXT) | instid1(VALU_DEP_4)
	v_fma_f64 v[23:24], -v[15:16], v[12:13], v[23:24]
	v_fma_f64 v[2:3], -v[15:16], v[12:13], v[2:3]
	global_load_b128 v[10:13], v[19:20], off offset:1664
	v_fma_f64 v[17:18], v[21:22], v[15:16], v[17:18]
	v_fma_f64 v[0:1], -v[21:22], v[15:16], v[0:1]
	ds_store_2addr_b64 v78, v[17:18], v[23:24] offset0:104 offset1:105
	ds_store_b128 v14, v[0:3] offset:4160
	ds_load_b128 v[0:3], v78 offset:1248
	ds_load_b128 v[15:18], v14 offset:3744
	s_waitcnt lgkmcnt(0)
	v_add_f64 v[21:22], v[0:1], -v[15:16]
	v_add_f64 v[23:24], v[2:3], v[17:18]
	v_add_f64 v[2:3], v[2:3], -v[17:18]
	v_add_f64 v[0:1], v[0:1], v[15:16]
	s_delay_alu instid0(VALU_DEP_4) | instskip(NEXT) | instid1(VALU_DEP_4)
	v_mul_f64 v[17:18], v[21:22], 0.5
	v_mul_f64 v[21:22], v[23:24], 0.5
	s_delay_alu instid0(VALU_DEP_4) | instskip(SKIP_1) | instid1(VALU_DEP_3)
	v_mul_f64 v[2:3], v[2:3], 0.5
	s_waitcnt vmcnt(1)
	v_mul_f64 v[15:16], v[17:18], v[6:7]
	s_delay_alu instid0(VALU_DEP_2) | instskip(SKIP_1) | instid1(VALU_DEP_3)
	v_fma_f64 v[23:24], v[21:22], v[6:7], v[2:3]
	v_fma_f64 v[2:3], v[21:22], v[6:7], -v[2:3]
	v_fma_f64 v[6:7], v[0:1], 0.5, v[15:16]
	v_fma_f64 v[0:1], v[0:1], 0.5, -v[15:16]
	s_delay_alu instid0(VALU_DEP_4) | instskip(NEXT) | instid1(VALU_DEP_4)
	v_fma_f64 v[15:16], -v[4:5], v[17:18], v[23:24]
	v_fma_f64 v[2:3], -v[4:5], v[17:18], v[2:3]
	s_delay_alu instid0(VALU_DEP_4) | instskip(NEXT) | instid1(VALU_DEP_4)
	v_fma_f64 v[17:18], v[21:22], v[4:5], v[6:7]
	v_fma_f64 v[0:1], -v[21:22], v[4:5], v[0:1]
	global_load_b128 v[4:7], v[19:20], off offset:2080
	ds_store_2addr_b64 v78, v[17:18], v[15:16] offset0:156 offset1:157
	ds_store_b128 v14, v[0:3] offset:3744
	ds_load_b128 v[0:3], v78 offset:1664
	ds_load_b128 v[15:18], v14 offset:3328
	s_waitcnt lgkmcnt(0)
	v_add_f64 v[19:20], v[0:1], -v[15:16]
	v_add_f64 v[21:22], v[2:3], v[17:18]
	v_add_f64 v[2:3], v[2:3], -v[17:18]
	v_add_f64 v[0:1], v[0:1], v[15:16]
	s_delay_alu instid0(VALU_DEP_4) | instskip(NEXT) | instid1(VALU_DEP_4)
	v_mul_f64 v[17:18], v[19:20], 0.5
	v_mul_f64 v[19:20], v[21:22], 0.5
	s_delay_alu instid0(VALU_DEP_4) | instskip(SKIP_1) | instid1(VALU_DEP_3)
	v_mul_f64 v[2:3], v[2:3], 0.5
	s_waitcnt vmcnt(1)
	v_mul_f64 v[15:16], v[17:18], v[12:13]
	s_delay_alu instid0(VALU_DEP_2) | instskip(SKIP_1) | instid1(VALU_DEP_3)
	v_fma_f64 v[21:22], v[19:20], v[12:13], v[2:3]
	v_fma_f64 v[2:3], v[19:20], v[12:13], -v[2:3]
	v_fma_f64 v[12:13], v[0:1], 0.5, v[15:16]
	v_fma_f64 v[0:1], v[0:1], 0.5, -v[15:16]
	s_delay_alu instid0(VALU_DEP_4) | instskip(NEXT) | instid1(VALU_DEP_4)
	v_fma_f64 v[15:16], -v[10:11], v[17:18], v[21:22]
	v_fma_f64 v[2:3], -v[10:11], v[17:18], v[2:3]
	s_delay_alu instid0(VALU_DEP_4) | instskip(NEXT) | instid1(VALU_DEP_4)
	v_fma_f64 v[12:13], v[19:20], v[10:11], v[12:13]
	v_fma_f64 v[0:1], -v[19:20], v[10:11], v[0:1]
	ds_store_2addr_b64 v78, v[12:13], v[15:16] offset0:208 offset1:209
	ds_store_b128 v14, v[0:3] offset:3328
	ds_load_b128 v[0:3], v78 offset:2080
	ds_load_b128 v[10:13], v14 offset:2912
	s_waitcnt lgkmcnt(0)
	v_add_f64 v[15:16], v[0:1], -v[10:11]
	v_add_f64 v[17:18], v[2:3], v[12:13]
	v_add_f64 v[2:3], v[2:3], -v[12:13]
	v_add_f64 v[0:1], v[0:1], v[10:11]
	s_delay_alu instid0(VALU_DEP_4) | instskip(NEXT) | instid1(VALU_DEP_4)
	v_mul_f64 v[12:13], v[15:16], 0.5
	v_mul_f64 v[15:16], v[17:18], 0.5
	s_delay_alu instid0(VALU_DEP_4) | instskip(SKIP_1) | instid1(VALU_DEP_3)
	v_mul_f64 v[2:3], v[2:3], 0.5
	s_waitcnt vmcnt(0)
	v_mul_f64 v[10:11], v[12:13], v[6:7]
	s_delay_alu instid0(VALU_DEP_2) | instskip(SKIP_1) | instid1(VALU_DEP_3)
	v_fma_f64 v[17:18], v[15:16], v[6:7], v[2:3]
	v_fma_f64 v[2:3], v[15:16], v[6:7], -v[2:3]
	v_fma_f64 v[6:7], v[0:1], 0.5, v[10:11]
	v_fma_f64 v[0:1], v[0:1], 0.5, -v[10:11]
	s_delay_alu instid0(VALU_DEP_4) | instskip(NEXT) | instid1(VALU_DEP_4)
	v_fma_f64 v[10:11], -v[4:5], v[12:13], v[17:18]
	v_fma_f64 v[2:3], -v[4:5], v[12:13], v[2:3]
	s_delay_alu instid0(VALU_DEP_4) | instskip(NEXT) | instid1(VALU_DEP_4)
	v_fma_f64 v[6:7], v[15:16], v[4:5], v[6:7]
	v_fma_f64 v[0:1], -v[15:16], v[4:5], v[0:1]
	v_add_nc_u32_e32 v4, 0x800, v78
	ds_store_2addr_b64 v4, v[6:7], v[10:11] offset0:4 offset1:5
	ds_store_b128 v14, v[0:3] offset:2912
	s_waitcnt lgkmcnt(0)
	s_barrier
	buffer_gl0_inv
	s_and_saveexec_b32 s0, vcc_lo
	s_cbranch_execz .LBB0_20
; %bb.18:
	ds_load_b128 v[2:5], v78
	ds_load_b128 v[10:13], v78 offset:416
	ds_load_b128 v[14:17], v78 offset:832
	ds_load_b128 v[18:21], v78 offset:1248
	ds_load_b128 v[22:25], v78 offset:1664
	ds_load_b128 v[26:29], v78 offset:2080
	v_add_co_u32 v0, vcc_lo, s8, v54
	v_add_co_ci_u32_e32 v1, vcc_lo, s9, v55, vcc_lo
	ds_load_b128 v[30:33], v78 offset:2496
	ds_load_b128 v[34:37], v78 offset:2912
	v_add_co_u32 v50, vcc_lo, v0, v8
	v_add_co_ci_u32_e32 v51, vcc_lo, v1, v9, vcc_lo
	ds_load_b128 v[6:9], v78 offset:3328
	ds_load_b128 v[38:41], v78 offset:3744
	;; [unrolled: 1-line block ×4, first 2 shown]
	s_waitcnt lgkmcnt(11)
	global_store_b128 v[50:51], v[2:5], off
	s_waitcnt lgkmcnt(10)
	global_store_b128 v[50:51], v[10:13], off offset:416
	s_waitcnt lgkmcnt(9)
	global_store_b128 v[50:51], v[14:17], off offset:832
	;; [unrolled: 2-line block ×5, first 2 shown]
	v_add_co_u32 v2, vcc_lo, 0x1000, v50
	v_add_co_ci_u32_e32 v3, vcc_lo, 0, v51, vcc_lo
	v_cmp_eq_u32_e32 vcc_lo, 25, v52
	s_waitcnt lgkmcnt(5)
	global_store_b128 v[50:51], v[30:33], off offset:2496
	s_waitcnt lgkmcnt(4)
	global_store_b128 v[50:51], v[34:37], off offset:2912
	;; [unrolled: 2-line block ×6, first 2 shown]
	s_and_b32 exec_lo, exec_lo, vcc_lo
	s_cbranch_execz .LBB0_20
; %bb.19:
	ds_load_b128 v[2:5], v78 offset:4592
	v_add_co_u32 v0, vcc_lo, 0x1000, v0
	v_add_co_ci_u32_e32 v1, vcc_lo, 0, v1, vcc_lo
	s_waitcnt lgkmcnt(0)
	global_store_b128 v[0:1], v[2:5], off offset:896
.LBB0_20:
	s_nop 0
	s_sendmsg sendmsg(MSG_DEALLOC_VGPRS)
	s_endpgm
	.section	.rodata,"a",@progbits
	.p2align	6, 0x0
	.amdhsa_kernel fft_rtc_back_len312_factors_13_4_3_2_wgs_52_tpt_26_dp_ip_CI_unitstride_sbrr_R2C_dirReg
		.amdhsa_group_segment_fixed_size 0
		.amdhsa_private_segment_fixed_size 0
		.amdhsa_kernarg_size 88
		.amdhsa_user_sgpr_count 15
		.amdhsa_user_sgpr_dispatch_ptr 0
		.amdhsa_user_sgpr_queue_ptr 0
		.amdhsa_user_sgpr_kernarg_segment_ptr 1
		.amdhsa_user_sgpr_dispatch_id 0
		.amdhsa_user_sgpr_private_segment_size 0
		.amdhsa_wavefront_size32 1
		.amdhsa_uses_dynamic_stack 0
		.amdhsa_enable_private_segment 0
		.amdhsa_system_sgpr_workgroup_id_x 1
		.amdhsa_system_sgpr_workgroup_id_y 0
		.amdhsa_system_sgpr_workgroup_id_z 0
		.amdhsa_system_sgpr_workgroup_info 0
		.amdhsa_system_vgpr_workitem_id 0
		.amdhsa_next_free_vgpr 211
		.amdhsa_next_free_sgpr 38
		.amdhsa_reserve_vcc 1
		.amdhsa_float_round_mode_32 0
		.amdhsa_float_round_mode_16_64 0
		.amdhsa_float_denorm_mode_32 3
		.amdhsa_float_denorm_mode_16_64 3
		.amdhsa_dx10_clamp 1
		.amdhsa_ieee_mode 1
		.amdhsa_fp16_overflow 0
		.amdhsa_workgroup_processor_mode 1
		.amdhsa_memory_ordered 1
		.amdhsa_forward_progress 0
		.amdhsa_shared_vgpr_count 0
		.amdhsa_exception_fp_ieee_invalid_op 0
		.amdhsa_exception_fp_denorm_src 0
		.amdhsa_exception_fp_ieee_div_zero 0
		.amdhsa_exception_fp_ieee_overflow 0
		.amdhsa_exception_fp_ieee_underflow 0
		.amdhsa_exception_fp_ieee_inexact 0
		.amdhsa_exception_int_div_zero 0
	.end_amdhsa_kernel
	.text
.Lfunc_end0:
	.size	fft_rtc_back_len312_factors_13_4_3_2_wgs_52_tpt_26_dp_ip_CI_unitstride_sbrr_R2C_dirReg, .Lfunc_end0-fft_rtc_back_len312_factors_13_4_3_2_wgs_52_tpt_26_dp_ip_CI_unitstride_sbrr_R2C_dirReg
                                        ; -- End function
	.section	.AMDGPU.csdata,"",@progbits
; Kernel info:
; codeLenInByte = 10408
; NumSgprs: 40
; NumVgprs: 211
; ScratchSize: 0
; MemoryBound: 0
; FloatMode: 240
; IeeeMode: 1
; LDSByteSize: 0 bytes/workgroup (compile time only)
; SGPRBlocks: 4
; VGPRBlocks: 26
; NumSGPRsForWavesPerEU: 40
; NumVGPRsForWavesPerEU: 211
; Occupancy: 7
; WaveLimiterHint : 1
; COMPUTE_PGM_RSRC2:SCRATCH_EN: 0
; COMPUTE_PGM_RSRC2:USER_SGPR: 15
; COMPUTE_PGM_RSRC2:TRAP_HANDLER: 0
; COMPUTE_PGM_RSRC2:TGID_X_EN: 1
; COMPUTE_PGM_RSRC2:TGID_Y_EN: 0
; COMPUTE_PGM_RSRC2:TGID_Z_EN: 0
; COMPUTE_PGM_RSRC2:TIDIG_COMP_CNT: 0
	.text
	.p2alignl 7, 3214868480
	.fill 96, 4, 3214868480
	.type	__hip_cuid_79d34dd09db6b3ae,@object ; @__hip_cuid_79d34dd09db6b3ae
	.section	.bss,"aw",@nobits
	.globl	__hip_cuid_79d34dd09db6b3ae
__hip_cuid_79d34dd09db6b3ae:
	.byte	0                               ; 0x0
	.size	__hip_cuid_79d34dd09db6b3ae, 1

	.ident	"AMD clang version 19.0.0git (https://github.com/RadeonOpenCompute/llvm-project roc-6.4.0 25133 c7fe45cf4b819c5991fe208aaa96edf142730f1d)"
	.section	".note.GNU-stack","",@progbits
	.addrsig
	.addrsig_sym __hip_cuid_79d34dd09db6b3ae
	.amdgpu_metadata
---
amdhsa.kernels:
  - .args:
      - .actual_access:  read_only
        .address_space:  global
        .offset:         0
        .size:           8
        .value_kind:     global_buffer
      - .offset:         8
        .size:           8
        .value_kind:     by_value
      - .actual_access:  read_only
        .address_space:  global
        .offset:         16
        .size:           8
        .value_kind:     global_buffer
      - .actual_access:  read_only
        .address_space:  global
        .offset:         24
        .size:           8
        .value_kind:     global_buffer
      - .offset:         32
        .size:           8
        .value_kind:     by_value
      - .actual_access:  read_only
        .address_space:  global
        .offset:         40
        .size:           8
        .value_kind:     global_buffer
      - .actual_access:  read_only
        .address_space:  global
        .offset:         48
        .size:           8
        .value_kind:     global_buffer
      - .offset:         56
        .size:           4
        .value_kind:     by_value
      - .actual_access:  read_only
        .address_space:  global
        .offset:         64
        .size:           8
        .value_kind:     global_buffer
      - .actual_access:  read_only
        .address_space:  global
        .offset:         72
        .size:           8
        .value_kind:     global_buffer
      - .address_space:  global
        .offset:         80
        .size:           8
        .value_kind:     global_buffer
    .group_segment_fixed_size: 0
    .kernarg_segment_align: 8
    .kernarg_segment_size: 88
    .language:       OpenCL C
    .language_version:
      - 2
      - 0
    .max_flat_workgroup_size: 52
    .name:           fft_rtc_back_len312_factors_13_4_3_2_wgs_52_tpt_26_dp_ip_CI_unitstride_sbrr_R2C_dirReg
    .private_segment_fixed_size: 0
    .sgpr_count:     40
    .sgpr_spill_count: 0
    .symbol:         fft_rtc_back_len312_factors_13_4_3_2_wgs_52_tpt_26_dp_ip_CI_unitstride_sbrr_R2C_dirReg.kd
    .uniform_work_group_size: 1
    .uses_dynamic_stack: false
    .vgpr_count:     211
    .vgpr_spill_count: 0
    .wavefront_size: 32
    .workgroup_processor_mode: 1
amdhsa.target:   amdgcn-amd-amdhsa--gfx1100
amdhsa.version:
  - 1
  - 2
...

	.end_amdgpu_metadata
